;; amdgpu-corpus repo=ROCm/rocFFT kind=compiled arch=gfx1201 opt=O3
	.text
	.amdgcn_target "amdgcn-amd-amdhsa--gfx1201"
	.amdhsa_code_object_version 6
	.protected	fft_rtc_fwd_len1800_factors_10_6_10_3_wgs_180_tpt_180_halfLds_half_op_CI_CI_unitstride_sbrr_dirReg ; -- Begin function fft_rtc_fwd_len1800_factors_10_6_10_3_wgs_180_tpt_180_halfLds_half_op_CI_CI_unitstride_sbrr_dirReg
	.globl	fft_rtc_fwd_len1800_factors_10_6_10_3_wgs_180_tpt_180_halfLds_half_op_CI_CI_unitstride_sbrr_dirReg
	.p2align	8
	.type	fft_rtc_fwd_len1800_factors_10_6_10_3_wgs_180_tpt_180_halfLds_half_op_CI_CI_unitstride_sbrr_dirReg,@function
fft_rtc_fwd_len1800_factors_10_6_10_3_wgs_180_tpt_180_halfLds_half_op_CI_CI_unitstride_sbrr_dirReg: ; @fft_rtc_fwd_len1800_factors_10_6_10_3_wgs_180_tpt_180_halfLds_half_op_CI_CI_unitstride_sbrr_dirReg
; %bb.0:
	s_clause 0x2
	s_load_b128 s[4:7], s[0:1], 0x0
	s_load_b128 s[8:11], s[0:1], 0x58
	;; [unrolled: 1-line block ×3, first 2 shown]
	v_mul_u32_u24_e32 v1, 0x16d, v0
	v_mov_b32_e32 v7, 0
	v_mov_b32_e32 v5, 0
	;; [unrolled: 1-line block ×3, first 2 shown]
	s_delay_alu instid0(VALU_DEP_4) | instskip(NEXT) | instid1(VALU_DEP_1)
	v_lshrrev_b32_e32 v1, 16, v1
	v_dual_mov_b32 v10, v7 :: v_dual_add_nc_u32 v9, ttmp9, v1
	s_wait_kmcnt 0x0
	v_cmp_lt_u64_e64 s2, s[6:7], 2
	s_delay_alu instid0(VALU_DEP_1)
	s_and_b32 vcc_lo, exec_lo, s2
	s_cbranch_vccnz .LBB0_8
; %bb.1:
	s_load_b64 s[2:3], s[0:1], 0x10
	v_mov_b32_e32 v5, 0
	v_mov_b32_e32 v6, 0
	s_delay_alu instid0(VALU_DEP_2)
	v_mov_b32_e32 v1, v5
	s_add_nc_u64 s[16:17], s[14:15], 8
	s_add_nc_u64 s[18:19], s[12:13], 8
	s_mov_b64 s[20:21], 1
	v_mov_b32_e32 v2, v6
	s_wait_kmcnt 0x0
	s_add_nc_u64 s[22:23], s[2:3], 8
	s_mov_b32 s3, 0
.LBB0_2:                                ; =>This Inner Loop Header: Depth=1
	s_load_b64 s[24:25], s[22:23], 0x0
                                        ; implicit-def: $vgpr3_vgpr4
	s_mov_b32 s2, exec_lo
	s_wait_kmcnt 0x0
	v_or_b32_e32 v8, s25, v10
	s_delay_alu instid0(VALU_DEP_1)
	v_cmpx_ne_u64_e32 0, v[7:8]
	s_wait_alu 0xfffe
	s_xor_b32 s26, exec_lo, s2
	s_cbranch_execz .LBB0_4
; %bb.3:                                ;   in Loop: Header=BB0_2 Depth=1
	s_cvt_f32_u32 s2, s24
	s_cvt_f32_u32 s27, s25
	s_sub_nc_u64 s[30:31], 0, s[24:25]
	s_wait_alu 0xfffe
	s_delay_alu instid0(SALU_CYCLE_1) | instskip(SKIP_1) | instid1(SALU_CYCLE_2)
	s_fmamk_f32 s2, s27, 0x4f800000, s2
	s_wait_alu 0xfffe
	v_s_rcp_f32 s2, s2
	s_delay_alu instid0(TRANS32_DEP_1) | instskip(SKIP_1) | instid1(SALU_CYCLE_2)
	s_mul_f32 s2, s2, 0x5f7ffffc
	s_wait_alu 0xfffe
	s_mul_f32 s27, s2, 0x2f800000
	s_wait_alu 0xfffe
	s_delay_alu instid0(SALU_CYCLE_2) | instskip(SKIP_1) | instid1(SALU_CYCLE_2)
	s_trunc_f32 s27, s27
	s_wait_alu 0xfffe
	s_fmamk_f32 s2, s27, 0xcf800000, s2
	s_cvt_u32_f32 s29, s27
	s_wait_alu 0xfffe
	s_delay_alu instid0(SALU_CYCLE_1) | instskip(SKIP_1) | instid1(SALU_CYCLE_2)
	s_cvt_u32_f32 s28, s2
	s_wait_alu 0xfffe
	s_mul_u64 s[34:35], s[30:31], s[28:29]
	s_wait_alu 0xfffe
	s_mul_hi_u32 s37, s28, s35
	s_mul_i32 s36, s28, s35
	s_mul_hi_u32 s2, s28, s34
	s_mul_i32 s33, s29, s34
	s_wait_alu 0xfffe
	s_add_nc_u64 s[36:37], s[2:3], s[36:37]
	s_mul_hi_u32 s27, s29, s34
	s_mul_hi_u32 s38, s29, s35
	s_add_co_u32 s2, s36, s33
	s_wait_alu 0xfffe
	s_add_co_ci_u32 s2, s37, s27
	s_mul_i32 s34, s29, s35
	s_add_co_ci_u32 s35, s38, 0
	s_wait_alu 0xfffe
	s_add_nc_u64 s[34:35], s[2:3], s[34:35]
	s_wait_alu 0xfffe
	v_add_co_u32 v3, s2, s28, s34
	s_delay_alu instid0(VALU_DEP_1) | instskip(SKIP_1) | instid1(VALU_DEP_1)
	s_cmp_lg_u32 s2, 0
	s_add_co_ci_u32 s29, s29, s35
	v_readfirstlane_b32 s28, v3
	s_wait_alu 0xfffe
	s_delay_alu instid0(VALU_DEP_1)
	s_mul_u64 s[30:31], s[30:31], s[28:29]
	s_wait_alu 0xfffe
	s_mul_hi_u32 s35, s28, s31
	s_mul_i32 s34, s28, s31
	s_mul_hi_u32 s2, s28, s30
	s_mul_i32 s33, s29, s30
	s_wait_alu 0xfffe
	s_add_nc_u64 s[34:35], s[2:3], s[34:35]
	s_mul_hi_u32 s27, s29, s30
	s_mul_hi_u32 s28, s29, s31
	s_wait_alu 0xfffe
	s_add_co_u32 s2, s34, s33
	s_add_co_ci_u32 s2, s35, s27
	s_mul_i32 s30, s29, s31
	s_add_co_ci_u32 s31, s28, 0
	s_wait_alu 0xfffe
	s_add_nc_u64 s[30:31], s[2:3], s[30:31]
	s_wait_alu 0xfffe
	v_add_co_u32 v8, s2, v3, s30
	s_delay_alu instid0(VALU_DEP_1) | instskip(SKIP_1) | instid1(VALU_DEP_1)
	s_cmp_lg_u32 s2, 0
	s_add_co_ci_u32 s2, s29, s31
	v_mul_hi_u32 v15, v9, v8
	s_wait_alu 0xfffe
	v_mad_co_u64_u32 v[3:4], null, v9, s2, 0
	v_mad_co_u64_u32 v[11:12], null, v10, v8, 0
	;; [unrolled: 1-line block ×3, first 2 shown]
	s_delay_alu instid0(VALU_DEP_3) | instskip(SKIP_1) | instid1(VALU_DEP_4)
	v_add_co_u32 v3, vcc_lo, v15, v3
	s_wait_alu 0xfffd
	v_add_co_ci_u32_e32 v4, vcc_lo, 0, v4, vcc_lo
	s_delay_alu instid0(VALU_DEP_2) | instskip(SKIP_1) | instid1(VALU_DEP_2)
	v_add_co_u32 v3, vcc_lo, v3, v11
	s_wait_alu 0xfffd
	v_add_co_ci_u32_e32 v3, vcc_lo, v4, v12, vcc_lo
	s_wait_alu 0xfffd
	v_add_co_ci_u32_e32 v4, vcc_lo, 0, v14, vcc_lo
	s_delay_alu instid0(VALU_DEP_2) | instskip(SKIP_1) | instid1(VALU_DEP_2)
	v_add_co_u32 v8, vcc_lo, v3, v13
	s_wait_alu 0xfffd
	v_add_co_ci_u32_e32 v11, vcc_lo, 0, v4, vcc_lo
	s_delay_alu instid0(VALU_DEP_2) | instskip(SKIP_1) | instid1(VALU_DEP_3)
	v_mul_lo_u32 v12, s25, v8
	v_mad_co_u64_u32 v[3:4], null, s24, v8, 0
	v_mul_lo_u32 v13, s24, v11
	s_delay_alu instid0(VALU_DEP_2) | instskip(NEXT) | instid1(VALU_DEP_2)
	v_sub_co_u32 v3, vcc_lo, v9, v3
	v_add3_u32 v4, v4, v13, v12
	s_delay_alu instid0(VALU_DEP_1) | instskip(SKIP_1) | instid1(VALU_DEP_1)
	v_sub_nc_u32_e32 v12, v10, v4
	s_wait_alu 0xfffd
	v_subrev_co_ci_u32_e64 v12, s2, s25, v12, vcc_lo
	v_add_co_u32 v13, s2, v8, 2
	s_wait_alu 0xf1ff
	v_add_co_ci_u32_e64 v14, s2, 0, v11, s2
	v_sub_co_u32 v15, s2, v3, s24
	v_sub_co_ci_u32_e32 v4, vcc_lo, v10, v4, vcc_lo
	s_wait_alu 0xf1ff
	v_subrev_co_ci_u32_e64 v12, s2, 0, v12, s2
	s_delay_alu instid0(VALU_DEP_3) | instskip(NEXT) | instid1(VALU_DEP_3)
	v_cmp_le_u32_e32 vcc_lo, s24, v15
	v_cmp_eq_u32_e64 s2, s25, v4
	s_wait_alu 0xfffd
	v_cndmask_b32_e64 v15, 0, -1, vcc_lo
	v_cmp_le_u32_e32 vcc_lo, s25, v12
	s_wait_alu 0xfffd
	v_cndmask_b32_e64 v16, 0, -1, vcc_lo
	v_cmp_le_u32_e32 vcc_lo, s24, v3
	;; [unrolled: 3-line block ×3, first 2 shown]
	s_wait_alu 0xfffd
	v_cndmask_b32_e64 v17, 0, -1, vcc_lo
	v_cmp_eq_u32_e32 vcc_lo, s25, v12
	s_wait_alu 0xf1ff
	s_delay_alu instid0(VALU_DEP_2)
	v_cndmask_b32_e64 v3, v17, v3, s2
	s_wait_alu 0xfffd
	v_cndmask_b32_e32 v12, v16, v15, vcc_lo
	v_add_co_u32 v15, vcc_lo, v8, 1
	s_wait_alu 0xfffd
	v_add_co_ci_u32_e32 v16, vcc_lo, 0, v11, vcc_lo
	s_delay_alu instid0(VALU_DEP_3) | instskip(SKIP_1) | instid1(VALU_DEP_2)
	v_cmp_ne_u32_e32 vcc_lo, 0, v12
	s_wait_alu 0xfffd
	v_cndmask_b32_e32 v4, v16, v14, vcc_lo
	v_cndmask_b32_e32 v12, v15, v13, vcc_lo
	v_cmp_ne_u32_e32 vcc_lo, 0, v3
	s_wait_alu 0xfffd
	s_delay_alu instid0(VALU_DEP_3) | instskip(NEXT) | instid1(VALU_DEP_3)
	v_cndmask_b32_e32 v4, v11, v4, vcc_lo
	v_cndmask_b32_e32 v3, v8, v12, vcc_lo
.LBB0_4:                                ;   in Loop: Header=BB0_2 Depth=1
	s_wait_alu 0xfffe
	s_and_not1_saveexec_b32 s2, s26
	s_cbranch_execz .LBB0_6
; %bb.5:                                ;   in Loop: Header=BB0_2 Depth=1
	v_cvt_f32_u32_e32 v3, s24
	s_sub_co_i32 s26, 0, s24
	s_delay_alu instid0(VALU_DEP_1) | instskip(NEXT) | instid1(TRANS32_DEP_1)
	v_rcp_iflag_f32_e32 v3, v3
	v_mul_f32_e32 v3, 0x4f7ffffe, v3
	s_delay_alu instid0(VALU_DEP_1) | instskip(SKIP_1) | instid1(VALU_DEP_1)
	v_cvt_u32_f32_e32 v3, v3
	s_wait_alu 0xfffe
	v_mul_lo_u32 v4, s26, v3
	s_delay_alu instid0(VALU_DEP_1) | instskip(NEXT) | instid1(VALU_DEP_1)
	v_mul_hi_u32 v4, v3, v4
	v_add_nc_u32_e32 v3, v3, v4
	s_delay_alu instid0(VALU_DEP_1) | instskip(NEXT) | instid1(VALU_DEP_1)
	v_mul_hi_u32 v3, v9, v3
	v_mul_lo_u32 v4, v3, s24
	v_add_nc_u32_e32 v8, 1, v3
	s_delay_alu instid0(VALU_DEP_2) | instskip(NEXT) | instid1(VALU_DEP_1)
	v_sub_nc_u32_e32 v4, v9, v4
	v_subrev_nc_u32_e32 v11, s24, v4
	v_cmp_le_u32_e32 vcc_lo, s24, v4
	s_wait_alu 0xfffd
	s_delay_alu instid0(VALU_DEP_2) | instskip(NEXT) | instid1(VALU_DEP_1)
	v_dual_cndmask_b32 v4, v4, v11 :: v_dual_cndmask_b32 v3, v3, v8
	v_cmp_le_u32_e32 vcc_lo, s24, v4
	s_delay_alu instid0(VALU_DEP_2) | instskip(SKIP_2) | instid1(VALU_DEP_2)
	v_add_nc_u32_e32 v8, 1, v3
	v_mov_b32_e32 v4, v7
	s_wait_alu 0xfffd
	v_cndmask_b32_e32 v3, v3, v8, vcc_lo
.LBB0_6:                                ;   in Loop: Header=BB0_2 Depth=1
	s_wait_alu 0xfffe
	s_or_b32 exec_lo, exec_lo, s2
	v_mul_lo_u32 v8, v4, s24
	s_delay_alu instid0(VALU_DEP_2)
	v_mul_lo_u32 v13, v3, s25
	s_load_b64 s[26:27], s[18:19], 0x0
	v_mad_co_u64_u32 v[11:12], null, v3, s24, 0
	s_load_b64 s[24:25], s[16:17], 0x0
	s_add_nc_u64 s[20:21], s[20:21], 1
	s_add_nc_u64 s[16:17], s[16:17], 8
	s_wait_alu 0xfffe
	v_cmp_ge_u64_e64 s2, s[20:21], s[6:7]
	s_add_nc_u64 s[18:19], s[18:19], 8
	s_add_nc_u64 s[22:23], s[22:23], 8
	v_add3_u32 v8, v12, v13, v8
	v_sub_co_u32 v9, vcc_lo, v9, v11
	s_wait_alu 0xfffd
	s_delay_alu instid0(VALU_DEP_2) | instskip(SKIP_2) | instid1(VALU_DEP_1)
	v_sub_co_ci_u32_e32 v8, vcc_lo, v10, v8, vcc_lo
	s_and_b32 vcc_lo, exec_lo, s2
	s_wait_kmcnt 0x0
	v_mul_lo_u32 v10, s26, v8
	v_mul_lo_u32 v11, s27, v9
	v_mad_co_u64_u32 v[5:6], null, s26, v9, v[5:6]
	v_mul_lo_u32 v8, s24, v8
	v_mul_lo_u32 v12, s25, v9
	v_mad_co_u64_u32 v[1:2], null, s24, v9, v[1:2]
	s_delay_alu instid0(VALU_DEP_4) | instskip(NEXT) | instid1(VALU_DEP_2)
	v_add3_u32 v6, v11, v6, v10
	v_add3_u32 v2, v12, v2, v8
	s_wait_alu 0xfffe
	s_cbranch_vccnz .LBB0_9
; %bb.7:                                ;   in Loop: Header=BB0_2 Depth=1
	v_dual_mov_b32 v10, v4 :: v_dual_mov_b32 v9, v3
	s_branch .LBB0_2
.LBB0_8:
	v_dual_mov_b32 v1, v5 :: v_dual_mov_b32 v2, v6
	v_dual_mov_b32 v3, v9 :: v_dual_mov_b32 v4, v10
.LBB0_9:
	s_load_b64 s[0:1], s[0:1], 0x28
	v_mul_hi_u32 v17, 0x16c16c2, v0
	s_lshl_b64 s[6:7], s[6:7], 3
                                        ; implicit-def: $vgpr7
	s_wait_kmcnt 0x0
	v_cmp_gt_u64_e32 vcc_lo, s[0:1], v[3:4]
	v_cmp_le_u64_e64 s0, s[0:1], v[3:4]
	s_delay_alu instid0(VALU_DEP_1)
	s_and_saveexec_b32 s1, s0
	s_wait_alu 0xfffe
	s_xor_b32 s0, exec_lo, s1
; %bb.10:
	v_mul_u32_u24_e32 v5, 0xb4, v17
                                        ; implicit-def: $vgpr17
	s_delay_alu instid0(VALU_DEP_1)
	v_sub_nc_u32_e32 v7, v0, v5
                                        ; implicit-def: $vgpr0
                                        ; implicit-def: $vgpr5_vgpr6
; %bb.11:
	s_wait_alu 0xfffe
	s_or_saveexec_b32 s1, s0
	s_add_nc_u64 s[2:3], s[14:15], s[6:7]
                                        ; implicit-def: $vgpr13
                                        ; implicit-def: $vgpr27
                                        ; implicit-def: $vgpr15
                                        ; implicit-def: $vgpr26
                                        ; implicit-def: $vgpr22
                                        ; implicit-def: $vgpr23
                                        ; implicit-def: $vgpr25
                                        ; implicit-def: $vgpr24
                                        ; implicit-def: $vgpr10
                                        ; implicit-def: $vgpr8
                                        ; implicit-def: $vgpr12
                                        ; implicit-def: $vgpr9
                                        ; implicit-def: $vgpr16
                                        ; implicit-def: $vgpr14
                                        ; implicit-def: $vgpr11
	s_wait_alu 0xfffe
	s_xor_b32 exec_lo, exec_lo, s1
	s_cbranch_execz .LBB0_13
; %bb.12:
	s_add_nc_u64 s[6:7], s[12:13], s[6:7]
	v_lshlrev_b64_e32 v[5:6], 2, v[5:6]
	s_load_b64 s[6:7], s[6:7], 0x0
	s_wait_kmcnt 0x0
	v_mul_lo_u32 v9, s7, v3
	v_mul_lo_u32 v10, s6, v4
	v_mad_co_u64_u32 v[7:8], null, s6, v3, 0
	s_delay_alu instid0(VALU_DEP_1) | instskip(SKIP_1) | instid1(VALU_DEP_2)
	v_add3_u32 v8, v8, v10, v9
	v_mul_u32_u24_e32 v10, 0xb4, v17
	v_lshlrev_b64_e32 v[8:9], 2, v[7:8]
	s_delay_alu instid0(VALU_DEP_2) | instskip(NEXT) | instid1(VALU_DEP_2)
	v_sub_nc_u32_e32 v7, v0, v10
	v_add_co_u32 v0, s0, s8, v8
	s_wait_alu 0xf1ff
	s_delay_alu instid0(VALU_DEP_3) | instskip(NEXT) | instid1(VALU_DEP_3)
	v_add_co_ci_u32_e64 v8, s0, s9, v9, s0
	v_lshlrev_b32_e32 v9, 2, v7
	s_delay_alu instid0(VALU_DEP_3) | instskip(SKIP_1) | instid1(VALU_DEP_3)
	v_add_co_u32 v0, s0, v0, v5
	s_wait_alu 0xf1ff
	v_add_co_ci_u32_e64 v6, s0, v8, v6, s0
	s_delay_alu instid0(VALU_DEP_2) | instskip(SKIP_1) | instid1(VALU_DEP_2)
	v_add_co_u32 v5, s0, v0, v9
	s_wait_alu 0xf1ff
	v_add_co_ci_u32_e64 v6, s0, 0, v6, s0
	s_clause 0x9
	global_load_b32 v8, v[5:6], off
	global_load_b32 v24, v[5:6], off offset:1440
	global_load_b32 v23, v[5:6], off offset:2880
	;; [unrolled: 1-line block ×9, first 2 shown]
	s_wait_loadcnt 0x9
	v_lshrrev_b32_e32 v10, 16, v8
	s_wait_loadcnt 0x8
	v_lshrrev_b32_e32 v25, 16, v24
	;; [unrolled: 2-line block ×5, first 2 shown]
.LBB0_13:
	s_or_b32 exec_lo, exec_lo, s1
	v_add_f16_e32 v0, v26, v23
	v_sub_f16_e32 v18, v24, v23
	v_sub_f16_e32 v19, v27, v26
	;; [unrolled: 1-line block ×3, first 2 shown]
	s_wait_loadcnt 0x2
	v_pk_add_f16 v21, v14, v16 neg_lo:[0,1] neg_hi:[0,1]
	v_fma_f16 v0, -0.5, v0, v8
	v_sub_f16_e32 v17, v22, v15
	v_add_f16_e32 v18, v19, v18
	s_wait_loadcnt 0x0
	v_pk_add_f16 v19, v9, v12 neg_lo:[0,1] neg_hi:[0,1]
	v_pk_add_f16 v35, v16, v12 neg_lo:[0,1] neg_hi:[0,1]
	v_fmamk_f16 v37, v6, 0x3b9c, v0
	v_fmac_f16_e32 v0, 0xbb9c, v6
	v_add_f16_e32 v20, v27, v24
	v_pk_add_f16 v19, v19, v21
	v_add_f16_e32 v29, v12, v16
	v_fmac_f16_e32 v37, 0x38b4, v17
	v_fmac_f16_e32 v0, 0xb8b4, v17
	v_pk_add_f16 v36, v14, v9 neg_lo:[0,1] neg_hi:[0,1]
	v_bfi_b32 v19, 0xffff, v19, v35
	v_add_f16_e32 v5, v24, v8
	v_fmac_f16_e32 v8, -0.5, v20
	v_fmac_f16_e32 v37, 0x34f2, v18
	v_fmac_f16_e32 v0, 0x34f2, v18
	v_fma_f16 v18, -0.5, v29, v11
	v_lshrrev_b32_e32 v29, 16, v36
	v_pk_mul_f16 v19, 0x38b434f2, v19
	v_fmamk_f16 v20, v17, 0xbb9c, v8
	v_sub_f16_e32 v28, v23, v24
	v_sub_f16_e32 v21, v26, v27
	v_fmac_f16_e32 v8, 0x3b9c, v17
	v_add_f16_e32 v17, v14, v11
	v_fmamk_f16 v31, v29, 0x3b9c, v18
	v_lshrrev_b32_e32 v32, 16, v19
	v_fmac_f16_e32 v20, 0x38b4, v6
	v_add_f16_e32 v21, v21, v28
	v_lshrrev_b32_e32 v30, 16, v16
	v_lshrrev_b32_e32 v28, 16, v12
	v_fmac_f16_e32 v8, 0xb8b4, v6
	v_add_f16_e32 v6, v16, v17
	v_add_f16_e32 v17, v32, v31
	v_fmac_f16_e32 v18, 0xbb9c, v29
	v_lshrrev_b32_e32 v33, 16, v11
	v_add_f16_e32 v34, v28, v30
	v_fmac_f16_e32 v20, 0x34f2, v21
	v_add_f16_e32 v31, v19, v17
	v_sub_f16_e32 v17, v18, v32
	v_pk_add_f16 v18, v9, v14
	v_fmac_f16_e32 v8, 0x34f2, v21
	v_add_f16_e32 v21, v12, v6
	v_fma_f16 v6, -0.5, v34, v33
	v_pk_add_f16 v16, v16, v14 neg_lo:[0,1] neg_hi:[0,1]
	v_lshrrev_b32_e32 v34, 16, v14
	v_pk_fma_f16 v11, v18, -0.5, v11 op_sel_hi:[1,0,1]
	v_pk_mul_f16 v14, 0x3b9c, v35 op_sel_hi:[0,1]
	v_pk_add_f16 v12, v12, v9 neg_lo:[0,1] neg_hi:[0,1]
	v_lshrrev_b32_e32 v32, 16, v9
	v_pk_mul_f16 v39, 0x38b4, v36 op_sel_hi:[0,1]
	v_fmamk_f16 v29, v36, 0xbb9c, v6
	v_pk_add_f16 v40, v11, v14 op_sel:[0,1] op_sel_hi:[1,0] neg_lo:[0,1] neg_hi:[0,1]
	v_pk_add_f16 v11, v14, v11 op_sel:[1,0] op_sel_hi:[0,1]
	v_sub_f16_e32 v18, v34, v30
	v_sub_f16_e32 v38, v32, v28
	v_fmac_f16_e32 v6, 0x3b9c, v36
	v_pk_add_f16 v12, v12, v16
	v_pk_add_f16 v16, v39, v40 op_sel:[1,0] op_sel_hi:[0,1]
	v_pk_add_f16 v11, v11, v39 op_sel:[0,1] op_sel_hi:[1,0] neg_lo:[0,1] neg_hi:[0,1]
	v_add_f16_e32 v5, v23, v5
	v_fmac_f16_e32 v29, 0xb8b4, v35
	v_add_f16_e32 v14, v38, v18
	v_fmac_f16_e32 v6, 0x38b4, v35
	v_pk_fma_f16 v38, 0x34f2, v12, v16 op_sel_hi:[0,1,1]
	v_pk_fma_f16 v36, 0x34f2, v12, v11 op_sel_hi:[0,1,1]
	v_add_f16_e32 v35, v19, v17
	v_add_f16_e32 v5, v26, v5
	v_fmac_f16_e32 v29, 0x34f2, v14
	v_fmac_f16_e32 v6, 0x34f2, v14
	v_mul_f16_e32 v11, 0x3a79, v31
	v_mul_f16_e32 v14, 0x34f2, v38
	v_lshrrev_b32_e32 v16, 16, v36
	v_mul_f16_e32 v17, 0x34f2, v36
	v_lshrrev_b32_e32 v18, 16, v38
	v_mul_f16_e32 v12, 0x3a79, v35
	v_add_f16_e32 v5, v27, v5
	v_add_f16_e32 v9, v9, v21
	v_fmac_f16_e32 v11, 0x38b4, v29
	v_fmac_f16_e32 v14, 0x3b9c, v16
	v_fma_f16 v16, v18, 0x3b9c, -v17
	v_fma_f16 v19, v6, 0x38b4, -v12
	v_add_f16_e32 v17, v9, v5
	v_add_f16_e32 v18, v37, v11
	;; [unrolled: 1-line block ×4, first 2 shown]
	v_mul_u32_u24_e32 v42, 10, v7
	v_add_f16_e32 v21, v0, v19
	v_sub_f16_e32 v41, v5, v9
	v_sub_f16_e32 v5, v37, v11
	;; [unrolled: 1-line block ×5, first 2 shown]
	v_lshl_add_u32 v37, v42, 1, 0
	v_pack_b32_f16 v0, v39, v40
	v_pack_b32_f16 v8, v17, v18
	;; [unrolled: 1-line block ×5, first 2 shown]
	s_load_b64 s[2:3], s[2:3], 0x0
	ds_store_2addr_b32 v37, v8, v0 offset1:1
	ds_store_2addr_b32 v37, v16, v14 offset0:2 offset1:3
	ds_store_b32 v37, v17 offset:16
	v_mad_i32_i24 v0, 0xffffffee, v7, v37
	global_wb scope:SCOPE_SE
	s_wait_dscnt 0x0
	s_wait_kmcnt 0x0
	s_barrier_signal -1
	s_barrier_wait -1
	global_inv scope:SCOPE_SE
	ds_load_u16 v8, v0
	ds_load_u16 v21, v0 offset:600
	ds_load_u16 v20, v0 offset:1200
	;; [unrolled: 1-line block ×5, first 2 shown]
	v_mul_i32_i24_e32 v0, 0xffffffee, v7
	v_cmp_gt_u32_e64 s0, 0x78, v7
                                        ; implicit-def: $vgpr14
                                        ; implicit-def: $vgpr16
	s_delay_alu instid0(VALU_DEP_2) | instskip(NEXT) | instid1(VALU_DEP_2)
	v_add_nc_u32_e32 v0, v37, v0
	s_and_saveexec_b32 s1, s0
	s_cbranch_execz .LBB0_15
; %bb.14:
	ds_load_u16 v5, v0 offset:360
	ds_load_u16 v12, v0 offset:960
	;; [unrolled: 1-line block ×6, first 2 shown]
.LBB0_15:
	s_wait_alu 0xfffe
	s_or_b32 exec_lo, exec_lo, s1
	v_add_f16_e32 v39, v15, v22
	v_add_f16_e32 v40, v25, v10
	;; [unrolled: 1-line block ×3, first 2 shown]
	v_sub_f16_e32 v24, v24, v27
	v_sub_f16_e32 v23, v23, v26
	;; [unrolled: 1-line block ×3, first 2 shown]
	v_fma_f16 v27, -0.5, v39, v10
	v_sub_f16_e32 v25, v22, v25
	v_add_f16_e32 v22, v22, v40
	v_fmac_f16_e32 v10, -0.5, v41
	v_sub_f16_e32 v39, v13, v15
	v_sub_f16_e32 v42, v15, v13
	v_fmamk_f16 v40, v24, 0xbb9c, v27
	v_add_f16_e32 v15, v15, v22
	v_add_f16_e32 v22, v34, v33
	v_fmamk_f16 v33, v23, 0x3b9c, v10
	v_fmac_f16_e32 v10, 0xbb9c, v23
	v_fmac_f16_e32 v27, 0x3b9c, v24
	v_add_f16_e32 v13, v13, v15
	v_add_f16_e32 v15, v30, v22
	v_fmac_f16_e32 v33, 0xb8b4, v24
	v_add_f16_e32 v22, v42, v25
	v_fmac_f16_e32 v10, 0x38b4, v24
	v_add_f16_e32 v26, v39, v26
	v_fmac_f16_e32 v40, 0xb8b4, v23
	v_fmac_f16_e32 v27, 0x38b4, v23
	v_add_f16_e32 v15, v28, v15
	v_mul_f16_e32 v23, 0xb8b4, v31
	v_mul_f16_e32 v22, 0x34f2, v22
	v_pack_b32_f16 v10, v10, v33
	v_pk_mul_f16 v24, 0x34f23b9c, v38
	v_mul_f16_e32 v6, 0x3a79, v6
	v_fmac_f16_e32 v40, 0x34f2, v26
	v_add_f16_e32 v15, v32, v15
	v_fmac_f16_e32 v23, 0x3a79, v29
	v_pk_add_f16 v10, v22, v10 op_sel_hi:[0,1]
	v_pk_fma_f16 v22, 0x34f2bb9c, v36, v24 op_sel:[0,0,1] op_sel_hi:[1,1,0] neg_lo:[0,0,1] neg_hi:[0,0,1]
	v_fmac_f16_e32 v27, 0x34f2, v26
	v_fma_f16 v25, v35, 0xb8b4, -v6
	v_add_f16_e32 v24, v15, v13
	v_add_f16_e32 v28, v40, v23
	v_pk_add_f16 v29, v10, v22
	v_bfi_b32 v6, 0xffff, v40, v10
	v_bfi_b32 v26, 0xffff, v23, v22
	v_add_f16_e32 v30, v27, v25
	v_sub_f16_e32 v13, v13, v15
	v_sub_f16_e32 v23, v10, v22
	v_sub_f16_e32 v22, v27, v25
	v_alignbit_b32 v10, v29, v29, 16
	v_pack_b32_f16 v15, v24, v28
	v_pk_add_f16 v6, v6, v26 neg_lo:[0,1] neg_hi:[0,1]
	v_pack_b32_f16 v13, v30, v13
	v_pack_b32_f16 v24, v23, v22
	global_wb scope:SCOPE_SE
	s_wait_dscnt 0x0
	s_barrier_signal -1
	s_barrier_wait -1
	global_inv scope:SCOPE_SE
	ds_store_2addr_b32 v37, v15, v10 offset1:1
	ds_store_2addr_b32 v37, v13, v6 offset0:2 offset1:3
	ds_store_b32 v37, v24 offset:16
	global_wb scope:SCOPE_SE
	s_wait_dscnt 0x0
	s_barrier_signal -1
	s_barrier_wait -1
	global_inv scope:SCOPE_SE
	ds_load_u16 v15, v0
	ds_load_u16 v33, v0 offset:600
	ds_load_u16 v32, v0 offset:1200
	;; [unrolled: 1-line block ×5, first 2 shown]
	v_lshrrev_b32_e32 v28, 16, v6
                                        ; implicit-def: $vgpr24
                                        ; implicit-def: $vgpr27
	s_and_saveexec_b32 s1, s0
	s_cbranch_execz .LBB0_17
; %bb.16:
	ds_load_u16 v6, v0 offset:360
	ds_load_u16 v28, v0 offset:960
	;; [unrolled: 1-line block ×6, first 2 shown]
.LBB0_17:
	s_wait_alu 0xfffe
	s_or_b32 exec_lo, exec_lo, s1
	v_and_b32_e32 v13, 0xff, v7
	v_add_nc_u32_e32 v10, 0xb4, v7
	s_delay_alu instid0(VALU_DEP_2) | instskip(NEXT) | instid1(VALU_DEP_2)
	v_mul_lo_u16 v25, 0xcd, v13
	v_and_b32_e32 v26, 0xffff, v10
	s_delay_alu instid0(VALU_DEP_2) | instskip(NEXT) | instid1(VALU_DEP_2)
	v_lshrrev_b16 v25, 11, v25
	v_mul_u32_u24_e32 v26, 0xcccd, v26
	s_delay_alu instid0(VALU_DEP_2) | instskip(NEXT) | instid1(VALU_DEP_2)
	v_mul_lo_u16 v34, v25, 10
	v_lshrrev_b32_e32 v26, 19, v26
	v_and_b32_e32 v25, 0xffff, v25
	s_delay_alu instid0(VALU_DEP_3) | instskip(NEXT) | instid1(VALU_DEP_3)
	v_sub_nc_u16 v34, v7, v34
	v_mul_lo_u16 v35, v26, 10
	s_delay_alu instid0(VALU_DEP_3) | instskip(SKIP_1) | instid1(VALU_DEP_4)
	v_mul_u32_u24_e32 v25, 0x78, v25
	v_mul_lo_u16 v26, v26, 60
	v_and_b32_e32 v34, 0xff, v34
	s_delay_alu instid0(VALU_DEP_4) | instskip(NEXT) | instid1(VALU_DEP_2)
	v_sub_nc_u16 v35, v10, v35
	v_mul_u32_u24_e32 v36, 5, v34
	s_delay_alu instid0(VALU_DEP_2) | instskip(SKIP_1) | instid1(VALU_DEP_3)
	v_and_b32_e32 v35, 0xffff, v35
	v_lshlrev_b32_e32 v34, 1, v34
	v_lshlrev_b32_e32 v36, 2, v36
	s_clause 0x1
	global_load_b128 v[40:43], v36, s[4:5]
	global_load_b32 v48, v36, s[4:5] offset:16
	v_mul_u32_u24_e32 v36, 5, v35
	v_add3_u32 v34, 0, v25, v34
	v_lshlrev_b32_e32 v25, 1, v35
	s_delay_alu instid0(VALU_DEP_3)
	v_lshlrev_b32_e32 v36, 2, v36
	s_clause 0x1
	global_load_b128 v[44:47], v36, s[4:5]
	global_load_b32 v49, v36, s[4:5] offset:16
	global_wb scope:SCOPE_SE
	s_wait_loadcnt_dscnt 0x0
	s_barrier_signal -1
	s_barrier_wait -1
	global_inv scope:SCOPE_SE
	v_lshrrev_b32_e32 v35, 16, v40
	v_lshrrev_b32_e32 v36, 16, v41
	;; [unrolled: 1-line block ×5, first 2 shown]
	v_mul_f16_e32 v52, v33, v35
	v_mul_f16_e32 v37, v21, v35
	;; [unrolled: 1-line block ×10, first 2 shown]
	v_lshrrev_b32_e32 v51, 16, v44
	v_lshrrev_b32_e32 v56, 16, v45
	;; [unrolled: 1-line block ×5, first 2 shown]
	v_fma_f16 v21, v21, v40, -v52
	v_fmac_f16_e32 v37, v33, v40
	v_fma_f16 v20, v20, v41, -v53
	v_fmac_f16_e32 v39, v32, v41
	;; [unrolled: 2-line block ×5, first 2 shown]
	v_mul_f16_e32 v40, v28, v51
	v_mul_f16_e32 v30, v12, v51
	;; [unrolled: 1-line block ×10, first 2 shown]
	v_fma_f16 v40, v12, v44, -v40
	v_fmac_f16_e32 v30, v28, v44
	v_fma_f16 v12, v11, v45, -v41
	v_fma_f16 v41, v9, v46, -v42
	v_fmac_f16_e32 v33, v22, v46
	v_fmac_f16_e32 v29, v27, v47
	v_fma_f16 v28, v14, v49, -v48
	v_fmac_f16_e32 v31, v24, v49
	v_add_f16_e32 v9, v8, v20
	v_add_f16_e32 v11, v20, v18
	v_add_f16_e32 v22, v21, v19
	v_add_f16_e32 v27, v38, v36
	v_fmac_f16_e32 v32, v23, v45
	v_fma_f16 v16, v16, v47, -v43
	v_sub_f16_e32 v14, v39, v35
	v_add_f16_e32 v23, v19, v17
	v_sub_f16_e32 v42, v19, v17
	v_add_f16_e32 v9, v9, v18
	v_fmac_f16_e32 v8, -0.5, v11
	v_add_f16_e32 v11, v22, v17
	v_fma_f16 v19, -0.5, v27, v37
	v_add_f16_e32 v27, v41, v28
	v_add_f16_e32 v44, v33, v31
	v_sub_f16_e32 v24, v38, v36
	v_fmac_f16_e32 v21, -0.5, v23
	v_add_f16_e32 v17, v12, v16
	v_sub_f16_e32 v43, v33, v31
	v_sub_f16_e32 v46, v41, v28
	v_fmamk_f16 v47, v14, 0x3aee, v8
	v_fmac_f16_e32 v8, 0xbaee, v14
	v_add_f16_e32 v48, v9, v11
	v_sub_f16_e32 v49, v9, v11
	v_fma_f16 v11, -0.5, v27, v40
	v_fma_f16 v14, -0.5, v44, v30
	v_fmamk_f16 v23, v24, 0x3aee, v21
	v_fmac_f16_e32 v21, 0xbaee, v24
	v_fmamk_f16 v22, v42, 0xbaee, v19
	v_fma_f16 v24, -0.5, v17, v5
	v_fmamk_f16 v17, v43, 0x3aee, v11
	v_fmamk_f16 v27, v46, 0xbaee, v14
	v_fmac_f16_e32 v11, 0xbaee, v43
	v_sub_f16_e32 v45, v32, v29
	v_fmac_f16_e32 v19, 0x3aee, v42
	v_mul_f16_e32 v9, 0x3aee, v22
	v_mul_f16_e32 v50, -0.5, v21
	v_fmac_f16_e32 v14, 0x3aee, v46
	v_mul_f16_e32 v43, 0x3aee, v27
	v_mul_f16_e32 v44, -0.5, v11
	v_fmamk_f16 v42, v45, 0x3aee, v24
	v_fmac_f16_e32 v9, 0.5, v23
	v_fmac_f16_e32 v50, 0x3aee, v19
	v_fmac_f16_e32 v24, 0xbaee, v45
	v_fmac_f16_e32 v43, 0.5, v17
	v_fmac_f16_e32 v44, 0x3aee, v14
	v_add_f16_e32 v45, v47, v9
	v_add_f16_e32 v46, v8, v50
	v_sub_f16_e32 v47, v47, v9
	v_sub_f16_e32 v50, v8, v50
	;; [unrolled: 1-line block ×4, first 2 shown]
	ds_store_b16 v34, v48
	ds_store_b16 v34, v45 offset:20
	ds_store_b16 v34, v46 offset:40
	;; [unrolled: 1-line block ×5, first 2 shown]
	s_and_saveexec_b32 s1, s0
	s_cbranch_execz .LBB0_19
; %bb.18:
	v_add_f16_e32 v5, v5, v12
	v_add_f16_e32 v40, v40, v41
	v_and_b32_e32 v41, 0xffff, v26
	v_add_f16_e32 v42, v42, v43
	v_add_f16_e32 v24, v24, v44
	;; [unrolled: 1-line block ×4, first 2 shown]
	v_lshlrev_b32_e32 v40, 1, v41
	s_delay_alu instid0(VALU_DEP_2) | instskip(NEXT) | instid1(VALU_DEP_2)
	v_add_f16_e32 v41, v5, v28
	v_add3_u32 v40, 0, v25, v40
	v_sub_f16_e32 v5, v5, v28
	ds_store_b16 v40, v41
	ds_store_b16 v40, v42 offset:20
	ds_store_b16 v40, v24 offset:40
	;; [unrolled: 1-line block ×5, first 2 shown]
.LBB0_19:
	s_wait_alu 0xfffe
	s_or_b32 exec_lo, exec_lo, s1
	v_add_f16_e32 v5, v39, v35
	v_add_f16_e32 v24, v15, v39
	v_sub_f16_e32 v18, v20, v18
	v_add_f16_e32 v20, v37, v38
	v_mul_f16_e32 v38, 0xbaee, v23
	v_fmac_f16_e32 v15, -0.5, v5
	v_add_f16_e32 v5, v32, v29
	v_mul_f16_e32 v39, -0.5, v19
	v_add_f16_e32 v40, v24, v35
	v_add_f16_e32 v41, v20, v36
	v_fmamk_f16 v42, v18, 0xbaee, v15
	v_fma_f16 v28, -0.5, v5, v6
	v_lshl_add_u32 v5, v7, 1, 0
	v_fmac_f16_e32 v15, 0x3aee, v18
	v_fmac_f16_e32 v38, 0.5, v22
	v_fmac_f16_e32 v39, 0xbaee, v21
	v_sub_f16_e32 v12, v12, v16
	v_mul_f16_e32 v35, 0xbaee, v17
	v_mul_f16_e32 v36, -0.5, v14
	global_wb scope:SCOPE_SE
	s_wait_dscnt 0x0
	s_barrier_signal -1
	s_barrier_wait -1
	global_inv scope:SCOPE_SE
	ds_load_u16 v23, v5 offset:360
	ds_load_u16 v22, v5 offset:720
	;; [unrolled: 1-line block ×6, first 2 shown]
	ds_load_u16 v14, v0
	ds_load_u16 v24, v5 offset:1080
	ds_load_u16 v19, v0 offset:2880
	;; [unrolled: 1-line block ×3, first 2 shown]
	v_fmamk_f16 v37, v12, 0xbaee, v28
	v_fmac_f16_e32 v28, 0x3aee, v12
	v_fmac_f16_e32 v35, 0.5, v27
	v_fmac_f16_e32 v36, 0xbaee, v11
	v_add_f16_e32 v43, v40, v41
	v_add_f16_e32 v44, v42, v38
	;; [unrolled: 1-line block ×3, first 2 shown]
	v_sub_f16_e32 v12, v37, v35
	v_sub_f16_e32 v11, v28, v36
	;; [unrolled: 1-line block ×5, first 2 shown]
	global_wb scope:SCOPE_SE
	s_wait_dscnt 0x0
	s_barrier_signal -1
	s_barrier_wait -1
	global_inv scope:SCOPE_SE
	ds_store_b16 v34, v43
	ds_store_b16 v34, v44 offset:20
	ds_store_b16 v34, v45 offset:40
	;; [unrolled: 1-line block ×5, first 2 shown]
	s_and_saveexec_b32 s1, s0
	s_cbranch_execz .LBB0_21
; %bb.20:
	v_add_f16_e32 v6, v6, v32
	v_add_f16_e32 v15, v30, v33
	v_and_b32_e32 v26, 0xffff, v26
	v_add_f16_e32 v28, v28, v36
	s_delay_alu instid0(VALU_DEP_4) | instskip(NEXT) | instid1(VALU_DEP_4)
	v_add_f16_e32 v6, v6, v29
	v_add_f16_e32 v15, v15, v31
	s_delay_alu instid0(VALU_DEP_4) | instskip(NEXT) | instid1(VALU_DEP_2)
	v_lshlrev_b32_e32 v26, 1, v26
	v_add_f16_e32 v27, v6, v15
	s_delay_alu instid0(VALU_DEP_2)
	v_add3_u32 v25, 0, v25, v26
	v_add_f16_e32 v26, v37, v35
	v_sub_f16_e32 v6, v6, v15
	ds_store_b16 v25, v27
	ds_store_b16 v25, v26 offset:20
	ds_store_b16 v25, v28 offset:40
	;; [unrolled: 1-line block ×5, first 2 shown]
.LBB0_21:
	s_wait_alu 0xfffe
	s_or_b32 exec_lo, exec_lo, s1
	v_mul_lo_u16 v6, 0x89, v13
	global_wb scope:SCOPE_SE
	s_wait_dscnt 0x0
	s_barrier_signal -1
	s_barrier_wait -1
	global_inv scope:SCOPE_SE
	v_lshrrev_b16 v6, 13, v6
	v_cmp_gt_u32_e64 s0, 60, v7
	s_delay_alu instid0(VALU_DEP_2) | instskip(SKIP_1) | instid1(VALU_DEP_2)
	v_mul_lo_u16 v13, v6, 60
	v_and_b32_e32 v6, 0xffff, v6
	v_sub_nc_u16 v13, v7, v13
	s_delay_alu instid0(VALU_DEP_2) | instskip(NEXT) | instid1(VALU_DEP_2)
	v_mul_u32_u24_e32 v6, 0x4b0, v6
	v_and_b32_e32 v13, 0xff, v13
	s_delay_alu instid0(VALU_DEP_1) | instskip(SKIP_1) | instid1(VALU_DEP_2)
	v_mul_u32_u24_e32 v15, 9, v13
	v_lshlrev_b32_e32 v13, 1, v13
	v_lshlrev_b32_e32 v15, 2, v15
	s_delay_alu instid0(VALU_DEP_2)
	v_add3_u32 v6, 0, v6, v13
	s_clause 0x2
	global_load_b128 v[36:39], v15, s[4:5] offset:200
	global_load_b128 v[43:46], v15, s[4:5] offset:216
	global_load_b32 v15, v15, s[4:5] offset:232
	ds_load_u16 v40, v5 offset:360
	ds_load_u16 v41, v5 offset:720
	ds_load_u16 v47, v5 offset:1080
	ds_load_u16 v25, v0
	ds_load_u16 v48, v0 offset:1440
	ds_load_u16 v49, v0 offset:1800
	ds_load_u16 v50, v0 offset:2160
	ds_load_u16 v51, v0 offset:2520
	ds_load_u16 v52, v0 offset:2880
	ds_load_u16 v53, v0 offset:3240
	global_wb scope:SCOPE_SE
	s_wait_loadcnt_dscnt 0x0
	s_barrier_signal -1
	s_barrier_wait -1
	global_inv scope:SCOPE_SE
	v_lshrrev_b32_e32 v13, 16, v36
	v_lshrrev_b32_e32 v26, 16, v37
	;; [unrolled: 1-line block ×9, first 2 shown]
	v_mul_f16_e32 v55, v40, v13
	v_mul_f16_e32 v28, v23, v13
	;; [unrolled: 1-line block ×17, first 2 shown]
	v_fma_f16 v26, v23, v36, -v55
	v_fmac_f16_e32 v28, v40, v36
	v_fma_f16 v42, v22, v37, -v13
	v_fma_f16 v13, v24, v38, -v56
	v_fmac_f16_e32 v31, v47, v38
	v_fma_f16 v36, v21, v39, -v57
	v_fmac_f16_e32 v30, v49, v43
	v_fma_f16 v38, v18, v44, -v59
	v_fma_f16 v16, v16, v45, -v60
	v_fmac_f16_e32 v29, v51, v45
	;; [unrolled: 5-line block ×3, first 2 shown]
	v_fmac_f16_e32 v33, v48, v39
	v_sub_f16_e32 v22, v42, v36
	v_sub_f16_e32 v23, v45, v38
	;; [unrolled: 1-line block ×4, first 2 shown]
	v_add_f16_e32 v51, v30, v29
	v_add_f16_e32 v55, v31, v27
	v_mul_f16_e32 v34, v18, v34
	v_add_f16_e32 v18, v36, v38
	v_add_f16_e32 v24, v42, v45
	;; [unrolled: 1-line block ×5, first 2 shown]
	v_sub_f16_e32 v43, v13, v20
	v_sub_f16_e32 v49, v20, v13
	;; [unrolled: 1-line block ×3, first 2 shown]
	v_add_f16_e32 v22, v22, v23
	v_add_f16_e32 v23, v37, v39
	v_fma_f16 v37, -0.5, v51, v28
	v_fmac_f16_e32 v35, v52, v46
	v_sub_f16_e32 v52, v20, v16
	v_fma_f16 v39, -0.5, v55, v28
	v_fmac_f16_e32 v34, v50, v44
	v_add_f16_e32 v15, v14, v42
	v_sub_f16_e32 v47, v30, v29
	v_sub_f16_e32 v44, v17, v16
	v_fma_f16 v18, -0.5, v18, v14
	v_fmac_f16_e32 v14, -0.5, v24
	v_fma_f16 v24, -0.5, v41, v26
	v_fmac_f16_e32 v26, -0.5, v48
	v_sub_f16_e32 v46, v31, v27
	v_sub_f16_e32 v50, v16, v17
	;; [unrolled: 1-line block ×4, first 2 shown]
	v_add_f16_e32 v20, v40, v20
	v_fmamk_f16 v40, v13, 0xbb9c, v37
	v_sub_f16_e32 v56, v30, v31
	v_sub_f16_e32 v57, v29, v27
	v_fmamk_f16 v41, v52, 0x3b9c, v39
	v_add_f16_e32 v58, v43, v44
	v_fmamk_f16 v43, v47, 0xbb9c, v26
	v_fmac_f16_e32 v26, 0x3b9c, v47
	v_fmamk_f16 v44, v46, 0x3b9c, v24
	v_fmac_f16_e32 v24, 0xbb9c, v46
	v_sub_f16_e32 v19, v32, v35
	v_add_f16_e32 v48, v49, v50
	v_add_f16_e32 v49, v53, v54
	v_fmac_f16_e32 v40, 0xb8b4, v52
	v_sub_f16_e32 v21, v33, v34
	v_add_f16_e32 v50, v56, v57
	v_fmac_f16_e32 v41, 0xb8b4, v13
	v_fmac_f16_e32 v39, 0xbb9c, v52
	;; [unrolled: 1-line block ×5, first 2 shown]
	v_add_f16_e32 v15, v15, v36
	v_fmamk_f16 v51, v19, 0x3b9c, v18
	v_fmac_f16_e32 v44, 0x38b4, v47
	v_fmac_f16_e32 v40, 0x34f2, v49
	v_fmamk_f16 v53, v21, 0xbb9c, v14
	v_add_f16_e32 v16, v20, v16
	v_fmac_f16_e32 v43, 0x38b4, v46
	v_fmac_f16_e32 v41, 0x34f2, v50
	v_fmac_f16_e32 v14, 0x3b9c, v21
	v_fmac_f16_e32 v39, 0x38b4, v13
	v_fmac_f16_e32 v26, 0x34f2, v48
	v_fmac_f16_e32 v18, 0xbb9c, v19
	v_fmac_f16_e32 v37, 0x38b4, v52
	v_fmac_f16_e32 v24, 0x34f2, v58
	v_add_f16_e32 v15, v15, v38
	v_fmac_f16_e32 v51, 0x38b4, v21
	v_fmac_f16_e32 v44, 0x34f2, v58
	v_mul_f16_e32 v13, 0x38b4, v40
	v_fmac_f16_e32 v53, 0x38b4, v19
	v_add_f16_e32 v16, v16, v17
	v_fmac_f16_e32 v43, 0x34f2, v48
	v_mul_f16_e32 v17, 0x3b9c, v41
	v_fmac_f16_e32 v14, 0xb8b4, v19
	v_fmac_f16_e32 v39, 0x34f2, v50
	v_mul_f16_e32 v19, 0x34f2, v26
	v_fmac_f16_e32 v18, 0xb8b4, v21
	v_fmac_f16_e32 v37, 0x34f2, v49
	v_mul_f16_e32 v20, 0x3a79, v24
	v_add_f16_e32 v15, v15, v45
	v_fmac_f16_e32 v51, 0x34f2, v22
	v_fmac_f16_e32 v13, 0x3a79, v44
	;; [unrolled: 1-line block ×5, first 2 shown]
	v_fma_f16 v19, v39, 0x3b9c, -v19
	v_fmac_f16_e32 v18, 0x34f2, v22
	v_fma_f16 v20, v37, 0x38b4, -v20
	v_add_f16_e32 v21, v15, v16
	v_sub_f16_e32 v15, v15, v16
	v_add_f16_e32 v16, v51, v13
	v_add_f16_e32 v22, v53, v17
	;; [unrolled: 1-line block ×4, first 2 shown]
	v_sub_f16_e32 v17, v53, v17
	v_sub_f16_e32 v47, v51, v13
	;; [unrolled: 1-line block ×4, first 2 shown]
	ds_store_b16 v6, v21
	ds_store_b16 v6, v16 offset:120
	ds_store_b16 v6, v22 offset:240
	;; [unrolled: 1-line block ×9, first 2 shown]
	global_wb scope:SCOPE_SE
	s_wait_dscnt 0x0
	s_barrier_signal -1
	s_barrier_wait -1
	global_inv scope:SCOPE_SE
	ds_load_u16 v15, v5 offset:360
	ds_load_u16 v17, v0 offset:1200
	;; [unrolled: 1-line block ×6, first 2 shown]
	ds_load_u16 v16, v0
	ds_load_u16 v18, v5 offset:720
	ds_load_u16 v23, v0 offset:3120
	s_and_saveexec_b32 s1, s0
	s_cbranch_execz .LBB0_23
; %bb.22:
	ds_load_u16 v13, v5 offset:1080
	ds_load_u16 v9, v0 offset:2280
	;; [unrolled: 1-line block ×3, first 2 shown]
.LBB0_23:
	s_wait_alu 0xfffe
	s_or_b32 exec_lo, exec_lo, s1
	v_add_f16_e32 v46, v33, v34
	v_add_f16_e32 v47, v32, v35
	;; [unrolled: 1-line block ×3, first 2 shown]
	v_sub_f16_e32 v36, v36, v38
	v_add_f16_e32 v28, v28, v31
	v_fma_f16 v46, -0.5, v46, v25
	v_fmac_f16_e32 v25, -0.5, v47
	v_sub_f16_e32 v42, v42, v45
	v_sub_f16_e32 v45, v32, v33
	v_add_f16_e32 v14, v14, v33
	v_sub_f16_e32 v32, v33, v32
	v_fmamk_f16 v47, v36, 0x3b9c, v25
	v_sub_f16_e32 v33, v34, v35
	v_fmac_f16_e32 v25, 0xbb9c, v36
	v_add_f16_e32 v28, v28, v30
	v_sub_f16_e32 v48, v35, v34
	v_fmamk_f16 v38, v42, 0xbb9c, v46
	v_fmac_f16_e32 v47, 0xb8b4, v42
	v_add_f16_e32 v31, v32, v33
	v_fmac_f16_e32 v25, 0x38b4, v42
	v_fmac_f16_e32 v46, 0x3b9c, v42
	v_add_f16_e32 v14, v14, v34
	v_add_f16_e32 v28, v28, v29
	;; [unrolled: 1-line block ×3, first 2 shown]
	v_fmac_f16_e32 v38, 0xb8b4, v36
	v_mul_f16_e32 v29, 0xb8b4, v44
	v_mul_f16_e32 v30, 0xbb9c, v43
	v_fmac_f16_e32 v47, 0x34f2, v31
	v_fmac_f16_e32 v25, 0x34f2, v31
	v_mul_f16_e32 v31, 0x34f2, v39
	v_fmac_f16_e32 v46, 0x38b4, v36
	v_mul_f16_e32 v32, 0x3a79, v37
	v_add_f16_e32 v14, v14, v35
	v_add_f16_e32 v27, v28, v27
	v_fmac_f16_e32 v38, 0x34f2, v45
	v_fmac_f16_e32 v29, 0x3a79, v40
	v_fmac_f16_e32 v30, 0x34f2, v41
	v_fma_f16 v26, v26, 0xbb9c, -v31
	v_fmac_f16_e32 v46, 0x34f2, v45
	v_fma_f16 v24, v24, 0xb8b4, -v32
	v_add_f16_e32 v28, v14, v27
	v_add_f16_e32 v31, v38, v29
	;; [unrolled: 1-line block ×5, first 2 shown]
	v_sub_f16_e32 v27, v14, v27
	v_sub_f16_e32 v29, v38, v29
	;; [unrolled: 1-line block ×5, first 2 shown]
	global_wb scope:SCOPE_SE
	s_wait_dscnt 0x0
	s_barrier_signal -1
	s_barrier_wait -1
	global_inv scope:SCOPE_SE
	ds_store_b16 v6, v28
	ds_store_b16 v6, v31 offset:120
	ds_store_b16 v6, v32 offset:240
	;; [unrolled: 1-line block ×9, first 2 shown]
	global_wb scope:SCOPE_SE
	s_wait_dscnt 0x0
	s_barrier_signal -1
	s_barrier_wait -1
	global_inv scope:SCOPE_SE
	ds_load_u16 v24, v5 offset:360
	ds_load_u16 v26, v0 offset:1200
	;; [unrolled: 1-line block ×6, first 2 shown]
	ds_load_u16 v25, v0
	ds_load_u16 v30, v5 offset:720
	ds_load_u16 v32, v0 offset:3120
	s_and_saveexec_b32 s1, s0
	s_cbranch_execz .LBB0_25
; %bb.24:
	ds_load_u16 v14, v5 offset:1080
	ds_load_u16 v12, v0 offset:2280
	ds_load_u16 v11, v0 offset:3480
.LBB0_25:
	s_wait_alu 0xfffe
	s_or_b32 exec_lo, exec_lo, s1
	s_and_saveexec_b32 s1, vcc_lo
	s_cbranch_execz .LBB0_28
; %bb.26:
	v_dual_mov_b32 v6, 0 :: v_dual_lshlrev_b32 v33, 1, v7
	v_mul_lo_u32 v42, s2, v4
	v_mul_hi_u32 v41, 0x1b4e81b5, v7
	v_add_nc_u32_e32 v43, 0x168, v7
	s_delay_alu instid0(VALU_DEP_4) | instskip(SKIP_2) | instid1(VALU_DEP_4)
	v_dual_mov_b32 v34, v6 :: v_dual_add_nc_u32 v5, 0x2d0, v33
	v_lshlrev_b64_e32 v[39:40], 2, v[1:2]
	v_add_nc_u32_e32 v0, 0x21c, v7
	v_mul_hi_u32 v1, 0x1b4e81b5, v43
	s_delay_alu instid0(VALU_DEP_4)
	v_lshlrev_b64_e32 v[35:36], 2, v[5:6]
	v_lshlrev_b32_e32 v5, 1, v10
	v_mul_lo_u32 v10, s3, v3
	v_mad_co_u64_u32 v[3:4], null, s2, v3, 0
	v_lshlrev_b64_e32 v[33:34], 2, v[33:34]
	v_add_co_u32 v35, vcc_lo, s4, v35
	s_wait_alu 0xfffd
	v_add_co_ci_u32_e32 v36, vcc_lo, s5, v36, vcc_lo
	v_lshrrev_b32_e32 v2, 6, v41
	v_add3_u32 v4, v4, v42, v10
	v_mov_b32_e32 v42, v6
	v_lshlrev_b64_e32 v[37:38], 2, v[5:6]
	global_load_b64 v[35:36], v[35:36], off offset:2360
	v_add_nc_u32_e32 v5, 0xb4, v7
	v_mul_u32_u24_e32 v10, 0x258, v2
	v_lshrrev_b32_e32 v49, 6, v1
	v_lshlrev_b64_e32 v[1:2], 2, v[3:4]
	v_add_co_u32 v37, vcc_lo, s4, v37
	s_wait_alu 0xfffd
	v_add_co_ci_u32_e32 v38, vcc_lo, s5, v38, vcc_lo
	v_add_co_u32 v33, vcc_lo, s4, v33
	s_wait_alu 0xfffd
	v_add_co_ci_u32_e32 v34, vcc_lo, s5, v34, vcc_lo
	s_clause 0x1
	global_load_b64 v[37:38], v[37:38], off offset:2360
	global_load_b64 v[33:34], v[33:34], off offset:2360
	v_mul_hi_u32 v44, 0x1b4e81b5, v5
	v_add_co_u32 v1, s1, s10, v1
	v_sub_nc_u32_e32 v3, v7, v10
	s_wait_alu 0xf1fe
	v_add_co_ci_u32_e64 v10, s1, s11, v2, s1
	s_delay_alu instid0(VALU_DEP_3) | instskip(SKIP_4) | instid1(VALU_DEP_4)
	v_add_co_u32 v2, s1, v1, v39
	v_lshrrev_b32_e32 v44, 6, v44
	v_mul_u32_u24_e32 v4, 0x258, v49
	v_mov_b32_e32 v41, v6
	v_cmp_gt_u32_e32 vcc_lo, 0x258, v0
	v_mul_u32_u24_e32 v45, 0x258, v44
	s_delay_alu instid0(VALU_DEP_4) | instskip(NEXT) | instid1(VALU_DEP_2)
	v_sub_nc_u32_e32 v4, v43, v4
	v_sub_nc_u32_e32 v5, v5, v45
	v_lshlrev_b32_e32 v45, 2, v3
	s_wait_alu 0xf1ff
	v_add_co_ci_u32_e64 v3, s1, v10, v40, s1
	s_delay_alu instid0(VALU_DEP_3) | instskip(NEXT) | instid1(VALU_DEP_3)
	v_mad_u32_u24 v5, 0x708, v44, v5
	v_add_co_u32 v45, s1, v2, v45
	s_wait_alu 0xf1ff
	s_delay_alu instid0(VALU_DEP_3) | instskip(NEXT) | instid1(VALU_DEP_3)
	v_add_co_ci_u32_e64 v46, s1, 0, v3, s1
	v_lshlrev_b64_e32 v[43:44], 2, v[5:6]
	v_add_nc_u32_e32 v40, 0x258, v5
	v_add_nc_u32_e32 v5, 0x4b0, v5
	s_delay_alu instid0(VALU_DEP_2) | instskip(NEXT) | instid1(VALU_DEP_2)
	v_lshlrev_b64_e32 v[39:40], 2, v[40:41]
	v_lshlrev_b64_e32 v[47:48], 2, v[5:6]
	v_mad_u32_u24 v5, 0x708, v49, v4
	v_add_co_u32 v43, s1, v2, v43
	s_wait_alu 0xf1ff
	v_add_co_ci_u32_e64 v44, s1, v3, v44, s1
	s_delay_alu instid0(VALU_DEP_3)
	v_add_nc_u32_e32 v41, 0x258, v5
	v_lshlrev_b64_e32 v[49:50], 2, v[5:6]
	v_add_co_u32 v39, s1, v2, v39
	v_add_nc_u32_e32 v5, 0x4b0, v5
	s_wait_alu 0xf1ff
	v_add_co_ci_u32_e64 v40, s1, v3, v40, s1
	v_add_co_u32 v47, s1, v2, v47
	v_lshlrev_b64_e32 v[41:42], 2, v[41:42]
	s_wait_alu 0xf1ff
	v_add_co_ci_u32_e64 v48, s1, v3, v48, s1
	v_lshlrev_b64_e32 v[4:5], 2, v[5:6]
	v_add_co_u32 v49, s1, v2, v49
	s_wait_alu 0xf1ff
	v_add_co_ci_u32_e64 v50, s1, v3, v50, s1
	v_add_co_u32 v41, s1, v2, v41
	s_wait_alu 0xf1ff
	v_add_co_ci_u32_e64 v42, s1, v3, v42, s1
	;; [unrolled: 3-line block ×3, first 2 shown]
	s_wait_loadcnt 0x2
	v_lshrrev_b32_e32 v1, 16, v35
	v_lshrrev_b32_e32 v10, 16, v36
	s_wait_dscnt 0x3
	s_delay_alu instid0(VALU_DEP_2) | instskip(SKIP_1) | instid1(VALU_DEP_2)
	v_mul_f16_e32 v51, v31, v1
	s_wait_dscnt 0x0
	v_mul_f16_e32 v52, v32, v10
	v_mul_f16_e32 v1, v22, v1
	;; [unrolled: 1-line block ×3, first 2 shown]
	v_fma_f16 v22, v22, v35, -v51
	s_delay_alu instid0(VALU_DEP_4) | instskip(NEXT) | instid1(VALU_DEP_4)
	v_fma_f16 v23, v23, v36, -v52
	v_fmac_f16_e32 v1, v31, v35
	s_delay_alu instid0(VALU_DEP_4)
	v_fmac_f16_e32 v10, v32, v36
	s_wait_loadcnt 0x1
	v_lshrrev_b32_e32 v53, 16, v37
	v_lshrrev_b32_e32 v54, 16, v38
	s_wait_loadcnt 0x0
	v_lshrrev_b32_e32 v55, 16, v33
	v_lshrrev_b32_e32 v56, 16, v34
	v_add_f16_e32 v58, v22, v23
	v_mul_f16_e32 v31, v28, v53
	v_mul_f16_e32 v32, v29, v54
	;; [unrolled: 1-line block ×8, first 2 shown]
	v_sub_f16_e32 v55, v22, v23
	v_add_f16_e32 v22, v18, v22
	v_fma_f16 v20, v20, v37, -v31
	v_fma_f16 v21, v21, v38, -v32
	v_fmac_f16_e32 v35, v28, v37
	v_fmac_f16_e32 v36, v29, v38
	v_fma_f16 v17, v17, v33, -v51
	v_fma_f16 v19, v19, v34, -v52
	v_fmac_f16_e32 v53, v26, v33
	v_fmac_f16_e32 v54, v27, v34
	v_add_f16_e32 v56, v1, v10
	v_add_f16_e32 v57, v30, v1
	v_sub_f16_e32 v1, v1, v10
	v_fma_f16 v18, -0.5, v58, v18
	v_add_f16_e32 v22, v22, v23
	v_sub_f16_e32 v23, v20, v21
	v_add_f16_e32 v27, v35, v36
	v_add_f16_e32 v29, v20, v21
	;; [unrolled: 1-line block ×5, first 2 shown]
	v_sub_f16_e32 v31, v17, v19
	v_add_f16_e32 v33, v25, v53
	v_add_f16_e32 v17, v16, v17
	v_fma_f16 v26, -0.5, v56, v30
	v_add_f16_e32 v28, v24, v35
	v_sub_f16_e32 v30, v35, v36
	v_sub_f16_e32 v35, v53, v54
	v_fmamk_f16 v38, v1, 0xbaee, v18
	v_fmac_f16_e32 v18, 0x3aee, v1
	v_fma_f16 v1, -0.5, v27, v24
	v_add_f16_e32 v20, v20, v21
	v_fma_f16 v21, -0.5, v32, v25
	v_fma_f16 v16, -0.5, v34, v16
	v_add_f16_e32 v10, v57, v10
	v_fma_f16 v15, -0.5, v29, v15
	v_add_f16_e32 v25, v33, v54
	v_add_f16_e32 v17, v17, v19
	v_fmamk_f16 v19, v23, 0x3aee, v1
	v_fmac_f16_e32 v1, 0xbaee, v23
	v_fmamk_f16 v23, v31, 0x3aee, v21
	v_fmac_f16_e32 v21, 0xbaee, v31
	;; [unrolled: 2-line block ×3, first 2 shown]
	v_add_f16_e32 v24, v28, v36
	v_pack_b32_f16 v10, v22, v10
	v_fmamk_f16 v22, v30, 0xbaee, v15
	v_fmac_f16_e32 v15, 0x3aee, v30
	v_fmamk_f16 v37, v55, 0x3aee, v26
	v_fmac_f16_e32 v26, 0xbaee, v55
	v_pack_b32_f16 v17, v17, v25
	v_pack_b32_f16 v16, v16, v21
	;; [unrolled: 1-line block ×8, first 2 shown]
	s_clause 0x8
	global_store_b32 v[45:46], v17, off
	global_store_b32 v[45:46], v16, off offset:2400
	global_store_b32 v[45:46], v21, off offset:4800
	global_store_b32 v[43:44], v20, off
	global_store_b32 v[39:40], v1, off
	;; [unrolled: 1-line block ×6, first 2 shown]
	s_and_b32 exec_lo, exec_lo, vcc_lo
	s_cbranch_execz .LBB0_28
; %bb.27:
	v_mov_b32_e32 v1, 0x21c
	s_delay_alu instid0(VALU_DEP_1) | instskip(NEXT) | instid1(VALU_DEP_1)
	v_cndmask_b32_e64 v1, 0xffffffc4, v1, s0
	v_add_lshl_u32 v5, v7, v1, 1
	v_mov_b32_e32 v1, v6
	s_delay_alu instid0(VALU_DEP_2) | instskip(NEXT) | instid1(VALU_DEP_2)
	v_lshlrev_b64_e32 v[4:5], 2, v[5:6]
	v_lshlrev_b64_e32 v[0:1], 2, v[0:1]
	s_delay_alu instid0(VALU_DEP_2) | instskip(SKIP_1) | instid1(VALU_DEP_3)
	v_add_co_u32 v4, vcc_lo, s4, v4
	s_wait_alu 0xfffd
	v_add_co_ci_u32_e32 v5, vcc_lo, s5, v5, vcc_lo
	s_delay_alu instid0(VALU_DEP_3) | instskip(SKIP_4) | instid1(VALU_DEP_1)
	v_add_co_u32 v0, vcc_lo, v2, v0
	s_wait_alu 0xfffd
	v_add_co_ci_u32_e32 v1, vcc_lo, v3, v1, vcc_lo
	global_load_b64 v[15:16], v[4:5], off offset:2360
	v_add_nc_u32_e32 v5, 0x474, v7
	v_lshlrev_b64_e32 v[17:18], 2, v[5:6]
	v_add_nc_u32_e32 v5, 0x6cc, v7
	s_wait_loadcnt 0x0
	v_lshrrev_b32_e32 v4, 16, v15
	v_lshrrev_b32_e32 v10, 16, v16
	s_delay_alu instid0(VALU_DEP_2) | instskip(SKIP_1) | instid1(VALU_DEP_3)
	v_mul_f16_e32 v7, v12, v4
	v_mul_f16_e32 v19, v9, v4
	v_mul_f16_e32 v20, v11, v10
	v_mul_f16_e32 v10, v8, v10
	v_lshlrev_b64_e32 v[4:5], 2, v[5:6]
	v_fma_f16 v9, v9, v15, -v7
	v_fmac_f16_e32 v19, v12, v15
	v_fma_f16 v8, v8, v16, -v20
	v_fmac_f16_e32 v10, v11, v16
	v_add_co_u32 v6, vcc_lo, v2, v17
	v_add_f16_e32 v12, v13, v9
	s_delay_alu instid0(VALU_DEP_4) | instskip(NEXT) | instid1(VALU_DEP_4)
	v_add_f16_e32 v11, v9, v8
	v_add_f16_e32 v15, v19, v10
	;; [unrolled: 1-line block ×3, first 2 shown]
	v_sub_f16_e32 v16, v19, v10
	v_sub_f16_e32 v9, v9, v8
	v_fmac_f16_e32 v13, -0.5, v11
	v_fmac_f16_e32 v14, -0.5, v15
	v_add_f16_e32 v8, v12, v8
	v_add_f16_e32 v10, v17, v10
	s_wait_alu 0xfffd
	v_add_co_ci_u32_e32 v7, vcc_lo, v3, v18, vcc_lo
	v_fmamk_f16 v11, v16, 0x3aee, v13
	v_fmamk_f16 v12, v9, 0xbaee, v14
	v_fmac_f16_e32 v13, 0xbaee, v16
	v_fmac_f16_e32 v14, 0x3aee, v9
	v_add_co_u32 v2, vcc_lo, v2, v4
	v_pack_b32_f16 v4, v8, v10
	s_wait_alu 0xfffd
	v_add_co_ci_u32_e32 v3, vcc_lo, v3, v5, vcc_lo
	v_pack_b32_f16 v5, v11, v12
	v_pack_b32_f16 v8, v13, v14
	s_clause 0x2
	global_store_b32 v[0:1], v4, off
	global_store_b32 v[6:7], v5, off
	;; [unrolled: 1-line block ×3, first 2 shown]
.LBB0_28:
	s_nop 0
	s_sendmsg sendmsg(MSG_DEALLOC_VGPRS)
	s_endpgm
	.section	.rodata,"a",@progbits
	.p2align	6, 0x0
	.amdhsa_kernel fft_rtc_fwd_len1800_factors_10_6_10_3_wgs_180_tpt_180_halfLds_half_op_CI_CI_unitstride_sbrr_dirReg
		.amdhsa_group_segment_fixed_size 0
		.amdhsa_private_segment_fixed_size 0
		.amdhsa_kernarg_size 104
		.amdhsa_user_sgpr_count 2
		.amdhsa_user_sgpr_dispatch_ptr 0
		.amdhsa_user_sgpr_queue_ptr 0
		.amdhsa_user_sgpr_kernarg_segment_ptr 1
		.amdhsa_user_sgpr_dispatch_id 0
		.amdhsa_user_sgpr_private_segment_size 0
		.amdhsa_wavefront_size32 1
		.amdhsa_uses_dynamic_stack 0
		.amdhsa_enable_private_segment 0
		.amdhsa_system_sgpr_workgroup_id_x 1
		.amdhsa_system_sgpr_workgroup_id_y 0
		.amdhsa_system_sgpr_workgroup_id_z 0
		.amdhsa_system_sgpr_workgroup_info 0
		.amdhsa_system_vgpr_workitem_id 0
		.amdhsa_next_free_vgpr 63
		.amdhsa_next_free_sgpr 39
		.amdhsa_reserve_vcc 1
		.amdhsa_float_round_mode_32 0
		.amdhsa_float_round_mode_16_64 0
		.amdhsa_float_denorm_mode_32 3
		.amdhsa_float_denorm_mode_16_64 3
		.amdhsa_fp16_overflow 0
		.amdhsa_workgroup_processor_mode 1
		.amdhsa_memory_ordered 1
		.amdhsa_forward_progress 0
		.amdhsa_round_robin_scheduling 0
		.amdhsa_exception_fp_ieee_invalid_op 0
		.amdhsa_exception_fp_denorm_src 0
		.amdhsa_exception_fp_ieee_div_zero 0
		.amdhsa_exception_fp_ieee_overflow 0
		.amdhsa_exception_fp_ieee_underflow 0
		.amdhsa_exception_fp_ieee_inexact 0
		.amdhsa_exception_int_div_zero 0
	.end_amdhsa_kernel
	.text
.Lfunc_end0:
	.size	fft_rtc_fwd_len1800_factors_10_6_10_3_wgs_180_tpt_180_halfLds_half_op_CI_CI_unitstride_sbrr_dirReg, .Lfunc_end0-fft_rtc_fwd_len1800_factors_10_6_10_3_wgs_180_tpt_180_halfLds_half_op_CI_CI_unitstride_sbrr_dirReg
                                        ; -- End function
	.section	.AMDGPU.csdata,"",@progbits
; Kernel info:
; codeLenInByte = 8032
; NumSgprs: 41
; NumVgprs: 63
; ScratchSize: 0
; MemoryBound: 0
; FloatMode: 240
; IeeeMode: 1
; LDSByteSize: 0 bytes/workgroup (compile time only)
; SGPRBlocks: 5
; VGPRBlocks: 7
; NumSGPRsForWavesPerEU: 41
; NumVGPRsForWavesPerEU: 63
; Occupancy: 15
; WaveLimiterHint : 1
; COMPUTE_PGM_RSRC2:SCRATCH_EN: 0
; COMPUTE_PGM_RSRC2:USER_SGPR: 2
; COMPUTE_PGM_RSRC2:TRAP_HANDLER: 0
; COMPUTE_PGM_RSRC2:TGID_X_EN: 1
; COMPUTE_PGM_RSRC2:TGID_Y_EN: 0
; COMPUTE_PGM_RSRC2:TGID_Z_EN: 0
; COMPUTE_PGM_RSRC2:TIDIG_COMP_CNT: 0
	.text
	.p2alignl 7, 3214868480
	.fill 96, 4, 3214868480
	.type	__hip_cuid_802e70c5d280e5ad,@object ; @__hip_cuid_802e70c5d280e5ad
	.section	.bss,"aw",@nobits
	.globl	__hip_cuid_802e70c5d280e5ad
__hip_cuid_802e70c5d280e5ad:
	.byte	0                               ; 0x0
	.size	__hip_cuid_802e70c5d280e5ad, 1

	.ident	"AMD clang version 19.0.0git (https://github.com/RadeonOpenCompute/llvm-project roc-6.4.0 25133 c7fe45cf4b819c5991fe208aaa96edf142730f1d)"
	.section	".note.GNU-stack","",@progbits
	.addrsig
	.addrsig_sym __hip_cuid_802e70c5d280e5ad
	.amdgpu_metadata
---
amdhsa.kernels:
  - .args:
      - .actual_access:  read_only
        .address_space:  global
        .offset:         0
        .size:           8
        .value_kind:     global_buffer
      - .offset:         8
        .size:           8
        .value_kind:     by_value
      - .actual_access:  read_only
        .address_space:  global
        .offset:         16
        .size:           8
        .value_kind:     global_buffer
      - .actual_access:  read_only
        .address_space:  global
        .offset:         24
        .size:           8
        .value_kind:     global_buffer
      - .actual_access:  read_only
        .address_space:  global
        .offset:         32
        .size:           8
        .value_kind:     global_buffer
      - .offset:         40
        .size:           8
        .value_kind:     by_value
      - .actual_access:  read_only
        .address_space:  global
        .offset:         48
        .size:           8
        .value_kind:     global_buffer
      - .actual_access:  read_only
        .address_space:  global
        .offset:         56
        .size:           8
        .value_kind:     global_buffer
      - .offset:         64
        .size:           4
        .value_kind:     by_value
      - .actual_access:  read_only
        .address_space:  global
        .offset:         72
        .size:           8
        .value_kind:     global_buffer
      - .actual_access:  read_only
        .address_space:  global
        .offset:         80
        .size:           8
        .value_kind:     global_buffer
      - .actual_access:  read_only
        .address_space:  global
        .offset:         88
        .size:           8
        .value_kind:     global_buffer
      - .actual_access:  write_only
        .address_space:  global
        .offset:         96
        .size:           8
        .value_kind:     global_buffer
    .group_segment_fixed_size: 0
    .kernarg_segment_align: 8
    .kernarg_segment_size: 104
    .language:       OpenCL C
    .language_version:
      - 2
      - 0
    .max_flat_workgroup_size: 180
    .name:           fft_rtc_fwd_len1800_factors_10_6_10_3_wgs_180_tpt_180_halfLds_half_op_CI_CI_unitstride_sbrr_dirReg
    .private_segment_fixed_size: 0
    .sgpr_count:     41
    .sgpr_spill_count: 0
    .symbol:         fft_rtc_fwd_len1800_factors_10_6_10_3_wgs_180_tpt_180_halfLds_half_op_CI_CI_unitstride_sbrr_dirReg.kd
    .uniform_work_group_size: 1
    .uses_dynamic_stack: false
    .vgpr_count:     63
    .vgpr_spill_count: 0
    .wavefront_size: 32
    .workgroup_processor_mode: 1
amdhsa.target:   amdgcn-amd-amdhsa--gfx1201
amdhsa.version:
  - 1
  - 2
...

	.end_amdgpu_metadata
